;; amdgpu-corpus repo=ROCm/rocFFT kind=compiled arch=gfx1201 opt=O3
	.text
	.amdgcn_target "amdgcn-amd-amdhsa--gfx1201"
	.amdhsa_code_object_version 6
	.protected	fft_rtc_back_len1936_factors_2_2_4_11_11_wgs_176_tpt_176_dp_ip_CI_sbrr_dirReg ; -- Begin function fft_rtc_back_len1936_factors_2_2_4_11_11_wgs_176_tpt_176_dp_ip_CI_sbrr_dirReg
	.globl	fft_rtc_back_len1936_factors_2_2_4_11_11_wgs_176_tpt_176_dp_ip_CI_sbrr_dirReg
	.p2align	8
	.type	fft_rtc_back_len1936_factors_2_2_4_11_11_wgs_176_tpt_176_dp_ip_CI_sbrr_dirReg,@function
fft_rtc_back_len1936_factors_2_2_4_11_11_wgs_176_tpt_176_dp_ip_CI_sbrr_dirReg: ; @fft_rtc_back_len1936_factors_2_2_4_11_11_wgs_176_tpt_176_dp_ip_CI_sbrr_dirReg
; %bb.0:
	s_clause 0x2
	s_load_b64 s[12:13], s[0:1], 0x18
	s_load_b128 s[4:7], s[0:1], 0x0
	s_load_b64 s[10:11], s[0:1], 0x50
	v_mul_u32_u24_e32 v1, 0x175, v0
	v_mov_b32_e32 v3, 0
	s_delay_alu instid0(VALU_DEP_2) | instskip(NEXT) | instid1(VALU_DEP_1)
	v_lshrrev_b32_e32 v1, 16, v1
	v_add_nc_u32_e32 v5, ttmp9, v1
	v_mov_b32_e32 v1, 0
	v_mov_b32_e32 v2, 0
	;; [unrolled: 1-line block ×3, first 2 shown]
	s_wait_kmcnt 0x0
	s_load_b64 s[8:9], s[12:13], 0x0
	v_cmp_lt_u64_e64 s2, s[6:7], 2
	s_delay_alu instid0(VALU_DEP_1)
	s_and_b32 vcc_lo, exec_lo, s2
	s_cbranch_vccnz .LBB0_8
; %bb.1:
	s_load_b64 s[2:3], s[0:1], 0x10
	v_mov_b32_e32 v1, 0
	v_mov_b32_e32 v2, 0
	s_add_nc_u64 s[14:15], s[12:13], 8
	s_mov_b64 s[16:17], 1
	s_wait_kmcnt 0x0
	s_add_nc_u64 s[18:19], s[2:3], 8
	s_mov_b32 s3, 0
.LBB0_2:                                ; =>This Inner Loop Header: Depth=1
	s_load_b64 s[20:21], s[18:19], 0x0
                                        ; implicit-def: $vgpr7_vgpr8
	s_mov_b32 s2, exec_lo
	s_wait_kmcnt 0x0
	v_or_b32_e32 v4, s21, v6
	s_delay_alu instid0(VALU_DEP_1)
	v_cmpx_ne_u64_e32 0, v[3:4]
	s_wait_alu 0xfffe
	s_xor_b32 s22, exec_lo, s2
	s_cbranch_execz .LBB0_4
; %bb.3:                                ;   in Loop: Header=BB0_2 Depth=1
	s_cvt_f32_u32 s2, s20
	s_cvt_f32_u32 s23, s21
	s_sub_nc_u64 s[26:27], 0, s[20:21]
	s_wait_alu 0xfffe
	s_delay_alu instid0(SALU_CYCLE_1) | instskip(SKIP_1) | instid1(SALU_CYCLE_2)
	s_fmamk_f32 s2, s23, 0x4f800000, s2
	s_wait_alu 0xfffe
	v_s_rcp_f32 s2, s2
	s_delay_alu instid0(TRANS32_DEP_1) | instskip(SKIP_1) | instid1(SALU_CYCLE_2)
	s_mul_f32 s2, s2, 0x5f7ffffc
	s_wait_alu 0xfffe
	s_mul_f32 s23, s2, 0x2f800000
	s_wait_alu 0xfffe
	s_delay_alu instid0(SALU_CYCLE_2) | instskip(SKIP_1) | instid1(SALU_CYCLE_2)
	s_trunc_f32 s23, s23
	s_wait_alu 0xfffe
	s_fmamk_f32 s2, s23, 0xcf800000, s2
	s_cvt_u32_f32 s25, s23
	s_wait_alu 0xfffe
	s_delay_alu instid0(SALU_CYCLE_1) | instskip(SKIP_1) | instid1(SALU_CYCLE_2)
	s_cvt_u32_f32 s24, s2
	s_wait_alu 0xfffe
	s_mul_u64 s[28:29], s[26:27], s[24:25]
	s_wait_alu 0xfffe
	s_mul_hi_u32 s31, s24, s29
	s_mul_i32 s30, s24, s29
	s_mul_hi_u32 s2, s24, s28
	s_mul_i32 s33, s25, s28
	s_wait_alu 0xfffe
	s_add_nc_u64 s[30:31], s[2:3], s[30:31]
	s_mul_hi_u32 s23, s25, s28
	s_mul_hi_u32 s34, s25, s29
	s_add_co_u32 s2, s30, s33
	s_wait_alu 0xfffe
	s_add_co_ci_u32 s2, s31, s23
	s_mul_i32 s28, s25, s29
	s_add_co_ci_u32 s29, s34, 0
	s_wait_alu 0xfffe
	s_add_nc_u64 s[28:29], s[2:3], s[28:29]
	s_wait_alu 0xfffe
	v_add_co_u32 v4, s2, s24, s28
	s_delay_alu instid0(VALU_DEP_1) | instskip(SKIP_1) | instid1(VALU_DEP_1)
	s_cmp_lg_u32 s2, 0
	s_add_co_ci_u32 s25, s25, s29
	v_readfirstlane_b32 s24, v4
	s_wait_alu 0xfffe
	s_delay_alu instid0(VALU_DEP_1)
	s_mul_u64 s[26:27], s[26:27], s[24:25]
	s_wait_alu 0xfffe
	s_mul_hi_u32 s29, s24, s27
	s_mul_i32 s28, s24, s27
	s_mul_hi_u32 s2, s24, s26
	s_mul_i32 s30, s25, s26
	s_wait_alu 0xfffe
	s_add_nc_u64 s[28:29], s[2:3], s[28:29]
	s_mul_hi_u32 s23, s25, s26
	s_mul_hi_u32 s24, s25, s27
	s_wait_alu 0xfffe
	s_add_co_u32 s2, s28, s30
	s_add_co_ci_u32 s2, s29, s23
	s_mul_i32 s26, s25, s27
	s_add_co_ci_u32 s27, s24, 0
	s_wait_alu 0xfffe
	s_add_nc_u64 s[26:27], s[2:3], s[26:27]
	s_wait_alu 0xfffe
	v_add_co_u32 v4, s2, v4, s26
	s_delay_alu instid0(VALU_DEP_1) | instskip(SKIP_1) | instid1(VALU_DEP_1)
	s_cmp_lg_u32 s2, 0
	s_add_co_ci_u32 s2, s25, s27
	v_mul_hi_u32 v13, v5, v4
	s_wait_alu 0xfffe
	v_mad_co_u64_u32 v[7:8], null, v5, s2, 0
	v_mad_co_u64_u32 v[9:10], null, v6, v4, 0
	;; [unrolled: 1-line block ×3, first 2 shown]
	s_delay_alu instid0(VALU_DEP_3) | instskip(SKIP_1) | instid1(VALU_DEP_4)
	v_add_co_u32 v4, vcc_lo, v13, v7
	s_wait_alu 0xfffd
	v_add_co_ci_u32_e32 v7, vcc_lo, 0, v8, vcc_lo
	s_delay_alu instid0(VALU_DEP_2) | instskip(SKIP_1) | instid1(VALU_DEP_2)
	v_add_co_u32 v4, vcc_lo, v4, v9
	s_wait_alu 0xfffd
	v_add_co_ci_u32_e32 v4, vcc_lo, v7, v10, vcc_lo
	s_wait_alu 0xfffd
	v_add_co_ci_u32_e32 v7, vcc_lo, 0, v12, vcc_lo
	s_delay_alu instid0(VALU_DEP_2) | instskip(SKIP_1) | instid1(VALU_DEP_2)
	v_add_co_u32 v4, vcc_lo, v4, v11
	s_wait_alu 0xfffd
	v_add_co_ci_u32_e32 v9, vcc_lo, 0, v7, vcc_lo
	s_delay_alu instid0(VALU_DEP_2) | instskip(SKIP_1) | instid1(VALU_DEP_3)
	v_mul_lo_u32 v10, s21, v4
	v_mad_co_u64_u32 v[7:8], null, s20, v4, 0
	v_mul_lo_u32 v11, s20, v9
	s_delay_alu instid0(VALU_DEP_2) | instskip(NEXT) | instid1(VALU_DEP_2)
	v_sub_co_u32 v7, vcc_lo, v5, v7
	v_add3_u32 v8, v8, v11, v10
	s_delay_alu instid0(VALU_DEP_1) | instskip(SKIP_1) | instid1(VALU_DEP_1)
	v_sub_nc_u32_e32 v10, v6, v8
	s_wait_alu 0xfffd
	v_subrev_co_ci_u32_e64 v10, s2, s21, v10, vcc_lo
	v_add_co_u32 v11, s2, v4, 2
	s_wait_alu 0xf1ff
	v_add_co_ci_u32_e64 v12, s2, 0, v9, s2
	v_sub_co_u32 v13, s2, v7, s20
	v_sub_co_ci_u32_e32 v8, vcc_lo, v6, v8, vcc_lo
	s_wait_alu 0xf1ff
	v_subrev_co_ci_u32_e64 v10, s2, 0, v10, s2
	s_delay_alu instid0(VALU_DEP_3) | instskip(NEXT) | instid1(VALU_DEP_3)
	v_cmp_le_u32_e32 vcc_lo, s20, v13
	v_cmp_eq_u32_e64 s2, s21, v8
	s_wait_alu 0xfffd
	v_cndmask_b32_e64 v13, 0, -1, vcc_lo
	v_cmp_le_u32_e32 vcc_lo, s21, v10
	s_wait_alu 0xfffd
	v_cndmask_b32_e64 v14, 0, -1, vcc_lo
	v_cmp_le_u32_e32 vcc_lo, s20, v7
	;; [unrolled: 3-line block ×3, first 2 shown]
	s_wait_alu 0xfffd
	v_cndmask_b32_e64 v15, 0, -1, vcc_lo
	v_cmp_eq_u32_e32 vcc_lo, s21, v10
	s_wait_alu 0xf1ff
	s_delay_alu instid0(VALU_DEP_2)
	v_cndmask_b32_e64 v7, v15, v7, s2
	s_wait_alu 0xfffd
	v_cndmask_b32_e32 v10, v14, v13, vcc_lo
	v_add_co_u32 v13, vcc_lo, v4, 1
	s_wait_alu 0xfffd
	v_add_co_ci_u32_e32 v14, vcc_lo, 0, v9, vcc_lo
	s_delay_alu instid0(VALU_DEP_3) | instskip(SKIP_2) | instid1(VALU_DEP_3)
	v_cmp_ne_u32_e32 vcc_lo, 0, v10
	s_wait_alu 0xfffd
	v_cndmask_b32_e32 v10, v13, v11, vcc_lo
	v_cndmask_b32_e32 v8, v14, v12, vcc_lo
	v_cmp_ne_u32_e32 vcc_lo, 0, v7
	s_wait_alu 0xfffd
	s_delay_alu instid0(VALU_DEP_2)
	v_dual_cndmask_b32 v7, v4, v10 :: v_dual_cndmask_b32 v8, v9, v8
.LBB0_4:                                ;   in Loop: Header=BB0_2 Depth=1
	s_wait_alu 0xfffe
	s_and_not1_saveexec_b32 s2, s22
	s_cbranch_execz .LBB0_6
; %bb.5:                                ;   in Loop: Header=BB0_2 Depth=1
	v_cvt_f32_u32_e32 v4, s20
	s_sub_co_i32 s22, 0, s20
	s_delay_alu instid0(VALU_DEP_1) | instskip(NEXT) | instid1(TRANS32_DEP_1)
	v_rcp_iflag_f32_e32 v4, v4
	v_mul_f32_e32 v4, 0x4f7ffffe, v4
	s_delay_alu instid0(VALU_DEP_1) | instskip(SKIP_1) | instid1(VALU_DEP_1)
	v_cvt_u32_f32_e32 v4, v4
	s_wait_alu 0xfffe
	v_mul_lo_u32 v7, s22, v4
	s_delay_alu instid0(VALU_DEP_1) | instskip(NEXT) | instid1(VALU_DEP_1)
	v_mul_hi_u32 v7, v4, v7
	v_add_nc_u32_e32 v4, v4, v7
	s_delay_alu instid0(VALU_DEP_1) | instskip(NEXT) | instid1(VALU_DEP_1)
	v_mul_hi_u32 v4, v5, v4
	v_mul_lo_u32 v7, v4, s20
	v_add_nc_u32_e32 v8, 1, v4
	s_delay_alu instid0(VALU_DEP_2) | instskip(NEXT) | instid1(VALU_DEP_1)
	v_sub_nc_u32_e32 v7, v5, v7
	v_subrev_nc_u32_e32 v9, s20, v7
	v_cmp_le_u32_e32 vcc_lo, s20, v7
	s_wait_alu 0xfffd
	s_delay_alu instid0(VALU_DEP_2) | instskip(NEXT) | instid1(VALU_DEP_1)
	v_dual_cndmask_b32 v7, v7, v9 :: v_dual_cndmask_b32 v4, v4, v8
	v_cmp_le_u32_e32 vcc_lo, s20, v7
	s_delay_alu instid0(VALU_DEP_2) | instskip(SKIP_1) | instid1(VALU_DEP_1)
	v_add_nc_u32_e32 v8, 1, v4
	s_wait_alu 0xfffd
	v_dual_cndmask_b32 v7, v4, v8 :: v_dual_mov_b32 v8, v3
.LBB0_6:                                ;   in Loop: Header=BB0_2 Depth=1
	s_wait_alu 0xfffe
	s_or_b32 exec_lo, exec_lo, s2
	s_load_b64 s[22:23], s[14:15], 0x0
	s_delay_alu instid0(VALU_DEP_1)
	v_mul_lo_u32 v4, v8, s20
	v_mul_lo_u32 v11, v7, s21
	v_mad_co_u64_u32 v[9:10], null, v7, s20, 0
	s_add_nc_u64 s[16:17], s[16:17], 1
	s_add_nc_u64 s[14:15], s[14:15], 8
	s_wait_alu 0xfffe
	v_cmp_ge_u64_e64 s2, s[16:17], s[6:7]
	s_add_nc_u64 s[18:19], s[18:19], 8
	s_delay_alu instid0(VALU_DEP_2) | instskip(NEXT) | instid1(VALU_DEP_3)
	v_add3_u32 v4, v10, v11, v4
	v_sub_co_u32 v5, vcc_lo, v5, v9
	s_wait_alu 0xfffd
	s_delay_alu instid0(VALU_DEP_2) | instskip(SKIP_3) | instid1(VALU_DEP_2)
	v_sub_co_ci_u32_e32 v4, vcc_lo, v6, v4, vcc_lo
	s_and_b32 vcc_lo, exec_lo, s2
	s_wait_kmcnt 0x0
	v_mul_lo_u32 v6, s23, v5
	v_mul_lo_u32 v4, s22, v4
	v_mad_co_u64_u32 v[1:2], null, s22, v5, v[1:2]
	s_delay_alu instid0(VALU_DEP_1)
	v_add3_u32 v2, v6, v2, v4
	s_wait_alu 0xfffe
	s_cbranch_vccnz .LBB0_9
; %bb.7:                                ;   in Loop: Header=BB0_2 Depth=1
	v_dual_mov_b32 v5, v7 :: v_dual_mov_b32 v6, v8
	s_branch .LBB0_2
.LBB0_8:
	v_dual_mov_b32 v8, v6 :: v_dual_mov_b32 v7, v5
.LBB0_9:
	s_lshl_b64 s[2:3], s[6:7], 3
	v_mul_hi_u32 v3, 0x1745d18, v0
	s_wait_alu 0xfffe
	s_add_nc_u64 s[2:3], s[12:13], s[2:3]
	s_load_b64 s[0:1], s[0:1], 0x20
	s_load_b64 s[2:3], s[2:3], 0x0
	s_delay_alu instid0(VALU_DEP_1) | instskip(NEXT) | instid1(VALU_DEP_1)
	v_mul_u32_u24_e32 v3, 0xb0, v3
	v_sub_nc_u32_e32 v60, v0, v3
	s_delay_alu instid0(VALU_DEP_1)
	v_add_nc_u32_e32 v63, 0xb0, v60
	v_add_nc_u32_e32 v62, 0x160, v60
	;; [unrolled: 1-line block ×4, first 2 shown]
	s_wait_kmcnt 0x0
	v_cmp_gt_u64_e32 vcc_lo, s[0:1], v[7:8]
	v_mul_lo_u32 v3, s2, v8
	v_mul_lo_u32 v4, s3, v7
	v_mad_co_u64_u32 v[0:1], null, s2, v7, v[1:2]
	v_cmp_le_u64_e64 s0, s[0:1], v[7:8]
                                        ; implicit-def: $sgpr2
	s_delay_alu instid0(VALU_DEP_2) | instskip(NEXT) | instid1(VALU_DEP_2)
	v_add3_u32 v1, v4, v1, v3
	s_and_saveexec_b32 s1, s0
	s_wait_alu 0xfffe
	s_xor_b32 s0, exec_lo, s1
; %bb.10:
	v_add_nc_u32_e32 v63, 0xb0, v60
	v_add_nc_u32_e32 v62, 0x160, v60
	;; [unrolled: 1-line block ×4, first 2 shown]
	s_mov_b32 s2, 0
; %bb.11:
	s_wait_alu 0xfffe
	s_or_saveexec_b32 s1, s0
	v_lshlrev_b64_e32 v[64:65], 4, v[0:1]
	v_mov_b32_e32 v66, s2
                                        ; implicit-def: $vgpr10_vgpr11
                                        ; implicit-def: $vgpr6_vgpr7
                                        ; implicit-def: $vgpr38_vgpr39
                                        ; implicit-def: $vgpr18_vgpr19
                                        ; implicit-def: $vgpr30_vgpr31
                                        ; implicit-def: $vgpr42_vgpr43
                                        ; implicit-def: $vgpr46_vgpr47
                                        ; implicit-def: $vgpr22_vgpr23
                                        ; implicit-def: $vgpr34_vgpr35
                                        ; implicit-def: $vgpr26_vgpr27
                                        ; implicit-def: $vgpr14_vgpr15
                                        ; implicit-def: $vgpr2_vgpr3
	s_wait_alu 0xfffe
	s_xor_b32 exec_lo, exec_lo, s1
	s_cbranch_execz .LBB0_15
; %bb.12:
	v_add_nc_u32_e32 v7, 0x3c8, v60
	v_mad_co_u64_u32 v[0:1], null, s8, v60, 0
	v_add_nc_u32_e32 v9, 0x478, v60
	v_mad_co_u64_u32 v[16:17], null, s8, v62, 0
	s_delay_alu instid0(VALU_DEP_4) | instskip(NEXT) | instid1(VALU_DEP_3)
	v_mad_co_u64_u32 v[2:3], null, s8, v7, 0
	v_mad_co_u64_u32 v[12:13], null, s8, v9, 0
	v_add_co_u32 v42, s0, s10, v64
	s_wait_alu 0xf1ff
	v_add_co_ci_u32_e64 v43, s0, s11, v65, s0
	s_delay_alu instid0(VALU_DEP_4) | instskip(SKIP_3) | instid1(VALU_DEP_3)
	v_mad_co_u64_u32 v[4:5], null, s9, v60, v[1:2]
	v_mov_b32_e32 v1, v3
	v_mad_co_u64_u32 v[5:6], null, s8, v63, 0
	v_mad_co_u64_u32 v[25:26], null, s8, v49, 0
	;; [unrolled: 1-line block ×3, first 2 shown]
	v_mov_b32_e32 v1, v4
	s_delay_alu instid0(VALU_DEP_4) | instskip(SKIP_3) | instid1(VALU_DEP_4)
	v_dual_mov_b32 v4, v6 :: v_dual_add_nc_u32 v27, 0x5d8, v60
	v_mov_b32_e32 v6, v13
	v_mad_co_u64_u32 v[20:21], null, s8, v48, 0
	v_mov_b32_e32 v3, v7
	v_mad_co_u64_u32 v[7:8], null, s9, v63, v[4:5]
	s_mov_b32 s2, exec_lo
                                        ; implicit-def: $vgpr44_vgpr45
                                        ; implicit-def: $vgpr40_vgpr41
	v_add_nc_u32_e32 v30, 0x688, v60
	s_delay_alu instid0(VALU_DEP_2) | instskip(SKIP_3) | instid1(VALU_DEP_3)
	v_mad_co_u64_u32 v[13:14], null, s9, v9, v[6:7]
	v_mov_b32_e32 v6, v7
	v_add_nc_u32_e32 v14, 0x528, v60
	v_lshlrev_b64_e32 v[0:1], 4, v[0:1]
	v_lshlrev_b64_e32 v[4:5], 4, v[5:6]
	v_mov_b32_e32 v6, v17
	v_lshlrev_b64_e32 v[2:3], 4, v[2:3]
	s_delay_alu instid0(VALU_DEP_4) | instskip(SKIP_3) | instid1(VALU_DEP_4)
	v_add_co_u32 v0, s0, v42, v0
	s_wait_alu 0xf1ff
	v_add_co_ci_u32_e64 v1, s0, v43, v1, s0
	v_mad_co_u64_u32 v[18:19], null, s8, v14, 0
	v_add_co_u32 v8, s0, v42, v2
	s_wait_alu 0xf1ff
	v_add_co_ci_u32_e64 v9, s0, v43, v3, s0
	s_clause 0x1
	global_load_b128 v[0:3], v[0:1], off
	global_load_b128 v[8:11], v[8:9], off
	v_mad_co_u64_u32 v[6:7], null, s9, v62, v[6:7]
	v_mov_b32_e32 v7, v19
	v_lshlrev_b64_e32 v[12:13], 4, v[12:13]
	v_add_co_u32 v4, s0, v42, v4
	s_wait_alu 0xf1ff
	v_add_co_ci_u32_e64 v5, s0, v43, v5, s0
	v_mov_b32_e32 v17, v6
	s_delay_alu instid0(VALU_DEP_4) | instskip(SKIP_2) | instid1(VALU_DEP_3)
	v_add_co_u32 v12, s0, v42, v12
	s_wait_alu 0xf1ff
	v_add_co_ci_u32_e64 v13, s0, v43, v13, s0
	v_lshlrev_b64_e32 v[16:17], 4, v[16:17]
	s_delay_alu instid0(VALU_DEP_1) | instskip(SKIP_1) | instid1(VALU_DEP_2)
	v_add_co_u32 v16, s0, v42, v16
	s_wait_alu 0xf1ff
	v_add_co_ci_u32_e64 v17, s0, v43, v17, s0
	s_wait_loadcnt 0x0
	v_mad_co_u64_u32 v[22:23], null, s9, v14, v[7:8]
	v_mad_co_u64_u32 v[23:24], null, s8, v27, 0
	s_clause 0x1
	global_load_b128 v[4:7], v[4:5], off
	global_load_b128 v[12:15], v[12:13], off
	v_mov_b32_e32 v19, v22
	v_mad_co_u64_u32 v[21:22], null, s9, v48, v[21:22]
	v_mov_b32_e32 v22, v24
	s_delay_alu instid0(VALU_DEP_1) | instskip(SKIP_3) | instid1(VALU_DEP_4)
	v_mad_co_u64_u32 v[27:28], null, s9, v27, v[22:23]
	v_mad_co_u64_u32 v[28:29], null, s8, v30, 0
	v_mov_b32_e32 v22, v26
	v_lshlrev_b64_e32 v[20:21], 4, v[20:21]
	v_mov_b32_e32 v24, v27
	s_delay_alu instid0(VALU_DEP_3) | instskip(SKIP_2) | instid1(VALU_DEP_2)
	v_mad_co_u64_u32 v[26:27], null, s9, v49, v[22:23]
	v_mov_b32_e32 v22, v29
	v_lshlrev_b64_e32 v[18:19], 4, v[18:19]
	v_mad_co_u64_u32 v[29:30], null, s9, v30, v[22:23]
	s_delay_alu instid0(VALU_DEP_2) | instskip(SKIP_2) | instid1(VALU_DEP_4)
	v_add_co_u32 v18, s0, v42, v18
	v_lshlrev_b64_e32 v[22:23], 4, v[23:24]
	s_wait_alu 0xf1ff
	v_add_co_ci_u32_e64 v19, s0, v43, v19, s0
	v_add_co_u32 v20, s0, v42, v20
	v_lshlrev_b64_e32 v[24:25], 4, v[25:26]
	s_wait_alu 0xf1ff
	v_add_co_ci_u32_e64 v21, s0, v43, v21, s0
	;; [unrolled: 4-line block ×3, first 2 shown]
	v_add_co_u32 v28, s0, v42, v24
	s_wait_alu 0xf1ff
	v_add_co_ci_u32_e64 v29, s0, v43, v25, s0
	v_add_co_u32 v30, s0, v42, v26
	s_wait_alu 0xf1ff
	v_add_co_ci_u32_e64 v31, s0, v43, v27, s0
	s_clause 0x5
	global_load_b128 v[24:27], v[16:17], off
	global_load_b128 v[36:39], v[18:19], off
	;; [unrolled: 1-line block ×6, first 2 shown]
	v_cmpx_gt_u32_e32 0x58, v60
	s_cbranch_execz .LBB0_14
; %bb.13:
	v_add_nc_u32_e32 v46, 0x370, v60
	s_delay_alu instid0(VALU_DEP_1) | instskip(NEXT) | instid1(VALU_DEP_1)
	v_mad_co_u64_u32 v[40:41], null, s8, v46, 0
	v_mad_co_u64_u32 v[46:47], null, s9, v46, v[41:42]
	s_delay_alu instid0(VALU_DEP_1) | instskip(NEXT) | instid1(VALU_DEP_1)
	v_dual_mov_b32 v41, v46 :: v_dual_add_nc_u32 v50, 0x738, v60
	v_mad_co_u64_u32 v[44:45], null, s8, v50, 0
	s_delay_alu instid0(VALU_DEP_2) | instskip(NEXT) | instid1(VALU_DEP_2)
	v_lshlrev_b64_e32 v[40:41], 4, v[40:41]
	v_mad_co_u64_u32 v[50:51], null, s9, v50, v[45:46]
	s_delay_alu instid0(VALU_DEP_2) | instskip(SKIP_1) | instid1(VALU_DEP_3)
	v_add_co_u32 v40, s0, v42, v40
	s_wait_alu 0xf1ff
	v_add_co_ci_u32_e64 v41, s0, v43, v41, s0
	s_delay_alu instid0(VALU_DEP_3) | instskip(NEXT) | instid1(VALU_DEP_1)
	v_mov_b32_e32 v45, v50
	v_lshlrev_b64_e32 v[44:45], 4, v[44:45]
	s_delay_alu instid0(VALU_DEP_1) | instskip(SKIP_1) | instid1(VALU_DEP_2)
	v_add_co_u32 v44, s0, v42, v44
	s_wait_alu 0xf1ff
	v_add_co_ci_u32_e64 v45, s0, v43, v45, s0
	s_clause 0x1
	global_load_b128 v[40:43], v[40:41], off
	global_load_b128 v[44:47], v[44:45], off
.LBB0_14:
	s_wait_alu 0xfffe
	s_or_b32 exec_lo, exec_lo, s2
	v_mov_b32_e32 v66, v60
.LBB0_15:
	s_or_b32 exec_lo, exec_lo, s1
	v_add_f64_e64 v[52:53], v[0:1], -v[8:9]
	v_add_f64_e64 v[54:55], v[2:3], -v[10:11]
	s_wait_loadcnt 0x0
	v_add_f64_e64 v[8:9], v[40:41], -v[44:45]
	v_add_f64_e64 v[10:11], v[42:43], -v[46:47]
	;; [unrolled: 1-line block ×10, first 2 shown]
	v_lshl_add_u32 v58, v60, 5, 0
	v_lshl_add_u32 v50, v63, 5, 0
	;; [unrolled: 1-line block ×5, first 2 shown]
	v_add_nc_u32_e32 v51, 0x370, v60
	v_cmp_gt_u32_e64 s0, 0x58, v60
	v_fma_f64 v[0:1], v[0:1], 2.0, -v[52:53]
	v_fma_f64 v[2:3], v[2:3], 2.0, -v[54:55]
	;; [unrolled: 1-line block ×12, first 2 shown]
	ds_store_b128 v58, v[0:3]
	ds_store_b128 v58, v[52:55] offset:16
	ds_store_b128 v50, v[4:7]
	ds_store_b128 v50, v[71:74] offset:16
	;; [unrolled: 2-line block ×5, first 2 shown]
	s_and_saveexec_b32 s1, s0
	s_cbranch_execz .LBB0_17
; %bb.16:
	v_lshl_add_u32 v0, v51, 5, 0
	ds_store_b128 v0, v[12:15]
	ds_store_b128 v0, v[8:11] offset:16
.LBB0_17:
	s_wait_alu 0xfffe
	s_or_b32 exec_lo, exec_lo, s1
	v_lshlrev_b32_e32 v52, 4, v60
	v_lshlrev_b32_e32 v53, 4, v63
	;; [unrolled: 1-line block ×5, first 2 shown]
	v_sub_nc_u32_e32 v36, v58, v52
	v_sub_nc_u32_e32 v16, v50, v53
	;; [unrolled: 1-line block ×5, first 2 shown]
	global_wb scope:SCOPE_SE
	s_wait_dscnt 0x0
	s_barrier_signal -1
	s_barrier_wait -1
	global_inv scope:SCOPE_SE
	ds_load_b128 v[0:3], v36
	ds_load_b128 v[4:7], v36 offset:15488
	ds_load_b128 v[24:27], v16
	ds_load_b128 v[16:19], v17
	ds_load_b128 v[40:43], v36 offset:18304
	ds_load_b128 v[32:35], v36 offset:21120
	ds_load_b128 v[28:31], v20
	ds_load_b128 v[20:23], v21
	ds_load_b128 v[44:47], v36 offset:23936
	ds_load_b128 v[36:39], v36 offset:26752
	v_sub_nc_u32_e32 v59, 0, v52
	v_lshlrev_b32_e32 v57, 1, v60
	v_lshlrev_b32_e32 v56, 1, v63
	;; [unrolled: 1-line block ×5, first 2 shown]
	v_add_nc_u32_e32 v67, v58, v59
	s_and_saveexec_b32 s1, s0
	s_cbranch_execz .LBB0_19
; %bb.18:
	ds_load_b128 v[12:15], v67 offset:14080
	ds_load_b128 v[8:11], v67 offset:29568
.LBB0_19:
	s_wait_alu 0xfffe
	s_or_b32 exec_lo, exec_lo, s1
	v_and_b32_e32 v49, 1, v60
	s_delay_alu instid0(VALU_DEP_1)
	v_lshlrev_b32_e32 v58, 4, v49
	global_load_b128 v[73:76], v58, s[4:5]
	global_wb scope:SCOPE_SE
	s_wait_loadcnt_dscnt 0x0
	s_barrier_signal -1
	s_barrier_wait -1
	global_inv scope:SCOPE_SE
	v_mul_f64_e32 v[58:59], v[6:7], v[75:76]
	v_mul_f64_e32 v[77:78], v[4:5], v[75:76]
	;; [unrolled: 1-line block ×12, first 2 shown]
	v_fma_f64 v[4:5], v[4:5], v[73:74], v[58:59]
	v_fma_f64 v[6:7], v[6:7], v[73:74], -v[77:78]
	v_fma_f64 v[40:41], v[40:41], v[73:74], v[79:80]
	v_fma_f64 v[42:43], v[42:43], v[73:74], -v[81:82]
	;; [unrolled: 2-line block ×6, first 2 shown]
	v_add_f64_e64 v[32:33], v[0:1], -v[4:5]
	v_add_f64_e64 v[34:35], v[2:3], -v[6:7]
	v_add_f64_e64 v[36:37], v[24:25], -v[40:41]
	v_add_f64_e64 v[38:39], v[26:27], -v[42:43]
	v_add_f64_e64 v[40:41], v[16:17], -v[58:59]
	v_add_f64_e64 v[42:43], v[18:19], -v[77:78]
	v_add_f64_e64 v[44:45], v[28:29], -v[44:45]
	v_add_f64_e64 v[46:47], v[30:31], -v[46:47]
	v_add_f64_e64 v[4:5], v[20:21], -v[79:80]
	v_add_f64_e64 v[6:7], v[22:23], -v[81:82]
	v_add_f64_e64 v[8:9], v[12:13], -v[8:9]
	v_add_f64_e64 v[10:11], v[14:15], -v[10:11]
	v_fma_f64 v[73:74], v[0:1], 2.0, -v[32:33]
	v_fma_f64 v[75:76], v[2:3], 2.0, -v[34:35]
	;; [unrolled: 1-line block ×12, first 2 shown]
	v_and_or_b32 v17, 0x1fc, v57, v49
	v_and_or_b32 v18, 0x3fc, v56, v49
	;; [unrolled: 1-line block ×3, first 2 shown]
	v_sub_nc_u32_e32 v16, 0, v53
	v_sub_nc_u32_e32 v24, 0, v55
	v_and_or_b32 v20, 0x7fc, v52, v49
	v_and_or_b32 v21, 0x7fc, v48, v49
	v_lshl_add_u32 v17, v17, 4, 0
	v_lshl_add_u32 v18, v18, 4, 0
	v_lshl_add_u32 v19, v19, 4, 0
	v_lshl_add_u32 v20, v20, 4, 0
	v_lshl_add_u32 v21, v21, 4, 0
	ds_store_b128 v17, v[73:76]
	ds_store_b128 v17, v[32:35] offset:32
	ds_store_b128 v18, v[77:80]
	ds_store_b128 v18, v[36:39] offset:32
	ds_store_b128 v19, v[81:84]
	ds_store_b128 v19, v[40:43] offset:32
	ds_store_b128 v20, v[25:28]
	ds_store_b128 v20, v[44:47] offset:32
	ds_store_b128 v21, v[0:3]
	ds_store_b128 v21, v[4:7] offset:32
	s_and_saveexec_b32 s1, s0
	s_cbranch_execz .LBB0_21
; %bb.20:
	v_lshlrev_b32_e32 v17, 1, v51
	s_delay_alu instid0(VALU_DEP_1) | instskip(NEXT) | instid1(VALU_DEP_1)
	v_and_or_b32 v17, 0x7fc, v17, v49
	v_lshl_add_u32 v17, v17, 4, 0
	ds_store_b128 v17, v[12:15]
	ds_store_b128 v17, v[8:11] offset:32
.LBB0_21:
	s_wait_alu 0xfffe
	s_or_b32 exec_lo, exec_lo, s1
	v_add_nc_u32_e32 v61, v50, v16
	global_wb scope:SCOPE_SE
	s_wait_dscnt 0x0
	s_barrier_signal -1
	s_barrier_wait -1
	global_inv scope:SCOPE_SE
	ds_load_b128 v[20:23], v67
	ds_load_b128 v[16:19], v61
	ds_load_b128 v[48:51], v67 offset:7744
	ds_load_b128 v[36:39], v67 offset:10560
	;; [unrolled: 1-line block ×6, first 2 shown]
	v_cmp_gt_u32_e64 s0, 0x84, v60
	v_add_nc_u32_e32 v68, v68, v24
	s_delay_alu instid0(VALU_DEP_2)
	s_and_saveexec_b32 s1, s0
	s_cbranch_execz .LBB0_23
; %bb.22:
	ds_load_b128 v[0:3], v68
	ds_load_b128 v[4:7], v67 offset:13376
	ds_load_b128 v[12:15], v67 offset:21120
	;; [unrolled: 1-line block ×3, first 2 shown]
.LBB0_23:
	s_wait_alu 0xfffe
	s_or_b32 exec_lo, exec_lo, s1
	v_and_b32_e32 v73, 3, v60
	s_delay_alu instid0(VALU_DEP_1) | instskip(NEXT) | instid1(VALU_DEP_1)
	v_mul_u32_u24_e32 v24, 3, v73
	v_lshlrev_b32_e32 v24, 4, v24
	s_clause 0x2
	global_load_b128 v[32:35], v24, s[4:5] offset:32
	global_load_b128 v[28:31], v24, s[4:5] offset:48
	;; [unrolled: 1-line block ×3, first 2 shown]
	global_wb scope:SCOPE_SE
	s_wait_loadcnt_dscnt 0x0
	s_barrier_signal -1
	s_barrier_wait -1
	global_inv scope:SCOPE_SE
	v_mul_f64_e32 v[74:75], v[50:51], v[34:35]
	v_mul_f64_e32 v[76:77], v[48:49], v[34:35]
	;; [unrolled: 1-line block ×12, first 2 shown]
	v_fma_f64 v[48:49], v[48:49], v[32:33], v[74:75]
	v_fma_f64 v[50:51], v[50:51], v[32:33], -v[76:77]
	v_fma_f64 v[52:53], v[52:53], v[28:29], v[78:79]
	v_fma_f64 v[54:55], v[54:55], v[28:29], -v[80:81]
	;; [unrolled: 2-line block ×6, first 2 shown]
	v_add_f64_e64 v[52:53], v[20:21], -v[52:53]
	v_add_f64_e64 v[54:55], v[22:23], -v[54:55]
	;; [unrolled: 1-line block ×8, first 2 shown]
	v_fma_f64 v[80:81], v[20:21], 2.0, -v[52:53]
	v_fma_f64 v[22:23], v[22:23], 2.0, -v[54:55]
	;; [unrolled: 1-line block ×4, first 2 shown]
	v_add_f64_e64 v[20:21], v[54:55], -v[56:57]
	v_fma_f64 v[16:17], v[16:17], 2.0, -v[74:75]
	v_fma_f64 v[82:83], v[18:19], 2.0, -v[78:79]
	;; [unrolled: 1-line block ×4, first 2 shown]
	v_add_f64_e32 v[36:37], v[74:75], v[40:41]
	v_add_f64_e32 v[18:19], v[52:53], v[58:59]
	v_add_f64_e64 v[40:41], v[80:81], -v[42:43]
	v_add_f64_e64 v[42:43], v[22:23], -v[44:45]
	v_fma_f64 v[50:51], v[54:55], 2.0, -v[20:21]
	v_add_f64_e64 v[44:45], v[16:17], -v[46:47]
	v_add_f64_e64 v[46:47], v[82:83], -v[38:39]
	;; [unrolled: 1-line block ×3, first 2 shown]
	v_fma_f64 v[48:49], v[52:53], 2.0, -v[18:19]
	v_fma_f64 v[52:53], v[74:75], 2.0, -v[36:37]
	;; [unrolled: 1-line block ×7, first 2 shown]
	v_lshlrev_b32_e32 v16, 2, v60
	v_lshlrev_b32_e32 v17, 2, v63
	s_delay_alu instid0(VALU_DEP_2) | instskip(NEXT) | instid1(VALU_DEP_2)
	v_and_or_b32 v22, 0x3f0, v16, v73
	v_and_or_b32 v23, 0x7f0, v17, v73
	v_sub_nc_u32_e32 v16, 0, v71
	v_sub_nc_u32_e32 v17, 0, v72
	s_delay_alu instid0(VALU_DEP_4) | instskip(NEXT) | instid1(VALU_DEP_4)
	v_lshl_add_u32 v22, v22, 4, 0
	v_lshl_add_u32 v23, v23, 4, 0
	ds_store_b128 v22, v[40:43] offset:128
	ds_store_b128 v22, v[18:21] offset:192
	ds_store_b128 v22, v[56:59]
	ds_store_b128 v22, v[48:51] offset:64
	ds_store_b128 v23, v[74:77]
	ds_store_b128 v23, v[52:55] offset:64
	ds_store_b128 v23, v[44:47] offset:128
	;; [unrolled: 1-line block ×3, first 2 shown]
	s_and_saveexec_b32 s1, s0
	s_cbranch_execz .LBB0_25
; %bb.24:
	v_mul_f64_e32 v[18:19], v[12:13], v[30:31]
	v_mul_f64_e32 v[20:21], v[6:7], v[34:35]
	;; [unrolled: 1-line block ×6, first 2 shown]
	v_fma_f64 v[14:15], v[14:15], v[28:29], -v[18:19]
	v_fma_f64 v[4:5], v[4:5], v[32:33], v[20:21]
	v_fma_f64 v[6:7], v[6:7], v[32:33], -v[22:23]
	v_fma_f64 v[10:11], v[10:11], v[24:25], -v[34:35]
	v_fma_f64 v[12:13], v[12:13], v[28:29], v[30:31]
	v_fma_f64 v[8:9], v[8:9], v[24:25], v[26:27]
	v_add_f64_e64 v[14:15], v[2:3], -v[14:15]
	s_delay_alu instid0(VALU_DEP_4) | instskip(NEXT) | instid1(VALU_DEP_4)
	v_add_f64_e64 v[10:11], v[6:7], -v[10:11]
	v_add_f64_e64 v[18:19], v[0:1], -v[12:13]
	s_delay_alu instid0(VALU_DEP_4) | instskip(NEXT) | instid1(VALU_DEP_4)
	v_add_f64_e64 v[8:9], v[4:5], -v[8:9]
	v_fma_f64 v[12:13], v[2:3], 2.0, -v[14:15]
	s_delay_alu instid0(VALU_DEP_4) | instskip(NEXT) | instid1(VALU_DEP_4)
	v_fma_f64 v[6:7], v[6:7], 2.0, -v[10:11]
	v_fma_f64 v[20:21], v[0:1], 2.0, -v[18:19]
	s_delay_alu instid0(VALU_DEP_4) | instskip(SKIP_1) | instid1(VALU_DEP_4)
	v_fma_f64 v[0:1], v[4:5], 2.0, -v[8:9]
	v_add_f64_e64 v[2:3], v[14:15], -v[8:9]
	v_add_f64_e64 v[6:7], v[12:13], -v[6:7]
	s_delay_alu instid0(VALU_DEP_3) | instskip(SKIP_1) | instid1(VALU_DEP_4)
	v_add_f64_e64 v[4:5], v[20:21], -v[0:1]
	v_add_f64_e32 v[0:1], v[18:19], v[10:11]
	v_fma_f64 v[10:11], v[14:15], 2.0, -v[2:3]
	s_delay_alu instid0(VALU_DEP_4) | instskip(NEXT) | instid1(VALU_DEP_4)
	v_fma_f64 v[14:15], v[12:13], 2.0, -v[6:7]
	v_fma_f64 v[12:13], v[20:21], 2.0, -v[4:5]
	s_delay_alu instid0(VALU_DEP_4) | instskip(SKIP_1) | instid1(VALU_DEP_1)
	v_fma_f64 v[8:9], v[18:19], 2.0, -v[0:1]
	v_lshlrev_b32_e32 v18, 2, v62
	v_and_or_b32 v18, 0xff0, v18, v73
	s_delay_alu instid0(VALU_DEP_1)
	v_lshl_add_u32 v18, v18, 4, 0
	ds_store_b128 v18, v[12:15]
	ds_store_b128 v18, v[8:11] offset:64
	ds_store_b128 v18, v[4:7] offset:128
	;; [unrolled: 1-line block ×3, first 2 shown]
.LBB0_25:
	s_wait_alu 0xfffe
	s_or_b32 exec_lo, exec_lo, s1
	v_and_b32_e32 v24, 15, v60
	global_wb scope:SCOPE_SE
	s_wait_dscnt 0x0
	s_barrier_signal -1
	s_barrier_wait -1
	global_inv scope:SCOPE_SE
	v_mul_u32_u24_e32 v0, 10, v24
	v_lshl_add_u32 v40, v60, 4, 0
	v_add_nc_u32_e32 v48, v69, v16
	v_add_nc_u32_e32 v49, v70, v17
	s_mov_b32 s24, 0x8eee2c13
	v_lshlrev_b32_e32 v0, 4, v0
	s_mov_b32 s2, 0xd9c712b6
	s_mov_b32 s18, 0xf8bb580b
	;; [unrolled: 1-line block ×4, first 2 shown]
	s_clause 0x9
	global_load_b128 v[4:7], v0, s[4:5] offset:224
	global_load_b128 v[10:13], v0, s[4:5] offset:368
	global_load_b128 v[18:21], v0, s[4:5] offset:240
	global_load_b128 v[25:28], v0, s[4:5] offset:352
	global_load_b128 v[29:32], v0, s[4:5] offset:256
	global_load_b128 v[33:36], v0, s[4:5] offset:336
	global_load_b128 v[41:44], v0, s[4:5] offset:272
	global_load_b128 v[50:53], v0, s[4:5] offset:288
	global_load_b128 v[54:57], v0, s[4:5] offset:320
	global_load_b128 v[71:74], v0, s[4:5] offset:304
	ds_load_b128 v[75:78], v61
	ds_load_b128 v[79:82], v40 offset:14080
	s_mov_b32 s26, 0x43842ef
	s_mov_b32 s16, 0x640f44db
	;; [unrolled: 1-line block ×16, first 2 shown]
	s_wait_alu 0xfffe
	s_mov_b32 s20, s24
	s_mov_b32 s31, 0x3fefac9e
	;; [unrolled: 1-line block ×9, first 2 shown]
	s_wait_loadcnt_dscnt 0x901
	v_mul_f64_e32 v[22:23], v[77:78], v[6:7]
	v_mul_f64_e32 v[37:38], v[75:76], v[6:7]
	ds_load_b128 v[6:9], v67 offset:28160
	ds_load_b128 v[83:86], v68
	ds_load_b128 v[87:90], v67 offset:25344
	ds_load_b128 v[14:17], v48
	;; [unrolled: 2-line block ×3, first 2 shown]
	ds_load_b128 v[95:98], v49
	s_wait_loadcnt_dscnt 0x207
	v_mul_f64_e32 v[107:108], v[81:82], v[52:53]
	v_mul_f64_e32 v[52:53], v[79:80], v[52:53]
	s_wait_dscnt 0x6
	v_mul_f64_e32 v[45:46], v[6:7], v[12:13]
	s_wait_dscnt 0x5
	;; [unrolled: 2-line block ×3, first 2 shown]
	v_mul_f64_e32 v[62:63], v[87:88], v[27:28]
	v_mul_f64_e32 v[69:70], v[85:86], v[20:21]
	;; [unrolled: 1-line block ×3, first 2 shown]
	s_wait_dscnt 0x2
	v_mul_f64_e32 v[103:104], v[91:92], v[35:36]
	v_mul_f64_e32 v[27:28], v[89:90], v[27:28]
	s_wait_dscnt 0x0
	v_mul_f64_e32 v[105:106], v[97:98], v[43:44]
	v_mul_f64_e32 v[43:44], v[95:96], v[43:44]
	;; [unrolled: 1-line block ×3, first 2 shown]
	v_fma_f64 v[75:76], v[75:76], v[4:5], v[22:23]
	v_fma_f64 v[37:38], v[77:78], v[4:5], -v[37:38]
	v_mul_f64_e32 v[77:78], v[14:15], v[31:32]
	v_mul_f64_e32 v[31:32], v[16:17], v[31:32]
	ds_load_b128 v[20:23], v67 offset:19712
	ds_load_b128 v[99:102], v67 offset:16896
	global_wb scope:SCOPE_SE
	s_wait_loadcnt_dscnt 0x0
	s_barrier_signal -1
	s_barrier_wait -1
	global_inv scope:SCOPE_SE
	v_fma_f64 v[4:5], v[8:9], v[10:11], -v[45:46]
	v_fma_f64 v[45:46], v[85:86], v[18:19], -v[58:59]
	;; [unrolled: 1-line block ×3, first 2 shown]
	v_fma_f64 v[58:59], v[83:84], v[18:19], v[69:70]
	v_mul_f64_e32 v[109:110], v[20:21], v[56:57]
	v_mul_f64_e32 v[56:57], v[22:23], v[56:57]
	;; [unrolled: 1-line block ×4, first 2 shown]
	v_fma_f64 v[6:7], v[6:7], v[10:11], v[12:13]
	v_fma_f64 v[12:13], v[93:94], v[33:34], -v[103:104]
	v_fma_f64 v[10:11], v[87:88], v[25:26], v[27:28]
	v_fma_f64 v[27:28], v[95:96], v[41:42], v[105:106]
	v_add_f64_e32 v[62:63], v[0:1], v[75:76]
	v_add_f64_e32 v[69:70], v[2:3], v[37:38]
	v_fma_f64 v[77:78], v[16:17], v[29:30], -v[77:78]
	v_fma_f64 v[25:26], v[14:15], v[29:30], v[31:32]
	v_fma_f64 v[29:30], v[97:98], v[41:42], -v[43:44]
	v_fma_f64 v[31:32], v[79:80], v[50:51], v[107:108]
	v_fma_f64 v[14:15], v[91:92], v[33:34], v[35:36]
	v_fma_f64 v[33:34], v[81:82], v[50:51], -v[52:53]
	v_add_f64_e64 v[35:36], v[37:38], -v[4:5]
	v_add_f64_e32 v[37:38], v[37:38], v[4:5]
	v_add_f64_e64 v[41:42], v[45:46], -v[8:9]
	v_fma_f64 v[16:17], v[22:23], v[54:55], -v[109:110]
	v_fma_f64 v[18:19], v[20:21], v[54:55], v[56:57]
	v_fma_f64 v[22:23], v[99:100], v[71:72], v[111:112]
	v_fma_f64 v[20:21], v[101:102], v[71:72], -v[73:74]
	v_add_f64_e32 v[54:55], v[75:76], v[6:7]
	v_add_f64_e64 v[56:57], v[75:76], -v[6:7]
	v_add_f64_e32 v[43:44], v[62:63], v[58:59]
	v_add_f64_e32 v[50:51], v[69:70], v[45:46]
	;; [unrolled: 1-line block ×3, first 2 shown]
	v_add_f64_e64 v[52:53], v[77:78], -v[12:13]
	v_add_f64_e32 v[62:63], v[58:59], v[10:11]
	v_add_f64_e64 v[58:59], v[58:59], -v[10:11]
	v_add_f64_e32 v[71:72], v[25:26], v[14:15]
	;; [unrolled: 2-line block ×3, first 2 shown]
	v_mul_f64_e32 v[97:98], s[24:25], v[35:36]
	v_mul_f64_e32 v[99:100], s[2:3], v[37:38]
	;; [unrolled: 1-line block ×10, first 2 shown]
	v_add_f64_e64 v[75:76], v[29:30], -v[16:17]
	v_add_f64_e32 v[89:90], v[29:30], v[16:17]
	v_add_f64_e32 v[79:80], v[27:28], v[18:19]
	v_add_f64_e64 v[91:92], v[27:28], -v[18:19]
	v_mul_f64_e32 v[109:110], s[24:25], v[41:42]
	v_mul_f64_e32 v[111:112], s[34:35], v[41:42]
	v_add_f64_e32 v[81:82], v[31:32], v[22:23]
	v_add_f64_e64 v[83:84], v[31:32], -v[22:23]
	v_add_f64_e32 v[25:26], v[43:44], v[25:26]
	v_add_f64_e32 v[50:51], v[50:51], v[77:78]
	v_mul_f64_e32 v[43:44], s[28:29], v[41:42]
	v_mul_f64_e32 v[115:116], s[14:15], v[45:46]
	;; [unrolled: 1-line block ×4, first 2 shown]
	s_wait_alu 0xfffe
	v_mul_f64_e32 v[41:42], s[6:7], v[41:42]
	v_mul_f64_e32 v[113:114], s[2:3], v[45:46]
	;; [unrolled: 1-line block ×14, first 2 shown]
	v_add_f64_e32 v[85:86], v[33:34], v[20:21]
	v_fma_f64 v[163:164], v[56:57], s[20:21], v[99:100]
	v_fma_f64 v[159:160], v[54:55], s[0:1], v[93:94]
	v_fma_f64 v[93:94], v[54:55], s[0:1], -v[93:94]
	v_fma_f64 v[165:166], v[56:57], s[30:31], v[103:104]
	v_fma_f64 v[161:162], v[56:57], s[6:7], v[95:96]
	;; [unrolled: 1-line block ×5, first 2 shown]
	v_fma_f64 v[105:106], v[54:55], s[14:15], -v[105:106]
	v_fma_f64 v[171:172], v[54:55], s[12:13], v[35:36]
	v_fma_f64 v[173:174], v[56:57], s[34:35], v[37:38]
	;; [unrolled: 1-line block ×4, first 2 shown]
	v_fma_f64 v[35:36], v[54:55], s[12:13], -v[35:36]
	v_fma_f64 v[37:38], v[56:57], s[22:23], v[37:38]
	v_fma_f64 v[175:176], v[62:63], s[12:13], v[111:112]
	v_fma_f64 v[111:112], v[62:63], s[12:13], -v[111:112]
	v_add_f64_e32 v[25:26], v[25:26], v[27:28]
	v_add_f64_e32 v[29:30], v[50:51], v[29:30]
	v_fma_f64 v[27:28], v[54:55], s[2:3], v[97:98]
	v_fma_f64 v[50:51], v[54:55], s[2:3], -v[97:98]
	v_fma_f64 v[97:98], v[56:57], s[24:25], v[99:100]
	v_fma_f64 v[99:100], v[54:55], s[16:17], v[101:102]
	v_fma_f64 v[101:102], v[54:55], s[16:17], -v[101:102]
	v_fma_f64 v[54:55], v[62:63], s[2:3], v[109:110]
	v_fma_f64 v[56:57], v[62:63], s[2:3], -v[109:110]
	v_fma_f64 v[109:110], v[62:63], s[14:15], v[43:44]
	v_fma_f64 v[181:182], v[58:59], s[36:37], v[115:116]
	v_fma_f64 v[43:44], v[62:63], s[14:15], -v[43:44]
	v_fma_f64 v[183:184], v[58:59], s[22:23], v[117:118]
	;; [unrolled: 3-line block ×3, first 2 shown]
	v_fma_f64 v[41:42], v[62:63], s[0:1], -v[41:42]
	v_fma_f64 v[62:63], v[58:59], s[20:21], v[113:114]
	v_fma_f64 v[113:114], v[58:59], s[24:25], v[113:114]
	;; [unrolled: 1-line block ×4, first 2 shown]
	v_add_f64_e32 v[163:164], v[2:3], v[163:164]
	v_add_f64_e32 v[159:160], v[0:1], v[159:160]
	;; [unrolled: 1-line block ×4, first 2 shown]
	v_fma_f64 v[45:46], v[58:59], s[6:7], v[45:46]
	v_add_f64_e32 v[95:96], v[2:3], v[95:96]
	v_add_f64_e32 v[167:168], v[0:1], v[167:168]
	;; [unrolled: 1-line block ×9, first 2 shown]
	v_fma_f64 v[119:120], v[58:59], s[30:31], v[119:120]
	v_fma_f64 v[117:118], v[58:59], s[34:35], v[117:118]
	;; [unrolled: 1-line block ×3, first 2 shown]
	v_add_f64_e32 v[25:26], v[25:26], v[31:32]
	v_add_f64_e32 v[29:30], v[29:30], v[33:34]
	;; [unrolled: 1-line block ×9, first 2 shown]
	v_add_f64_e64 v[87:88], v[33:34], -v[20:21]
	v_mul_f64_e32 v[139:140], s[30:31], v[75:76]
	v_mul_f64_e32 v[147:148], s[16:17], v[89:90]
	v_fma_f64 v[33:34], v[71:72], s[12:13], v[123:124]
	v_fma_f64 v[35:36], v[73:74], s[22:23], v[131:132]
	v_mul_f64_e32 v[141:142], s[18:19], v[75:76]
	v_mul_f64_e32 v[149:150], s[0:1], v[89:90]
	v_fma_f64 v[31:32], v[71:72], s[16:17], v[121:122]
	v_fma_f64 v[58:59], v[71:72], s[16:17], -v[121:122]
	v_fma_f64 v[121:122], v[71:72], s[12:13], -v[123:124]
	v_fma_f64 v[123:124], v[71:72], s[2:3], v[125:126]
	v_fma_f64 v[37:38], v[73:74], s[34:35], v[131:132]
	v_add_f64_e32 v[163:164], v[181:182], v[163:164]
	v_fma_f64 v[131:132], v[73:74], s[24:25], v[133:134]
	v_add_f64_e32 v[54:55], v[54:55], v[159:160]
	v_add_f64_e32 v[56:57], v[56:57], v[93:94]
	;; [unrolled: 1-line block ×3, first 2 shown]
	v_mul_f64_e32 v[137:138], s[28:29], v[75:76]
	v_mul_f64_e32 v[143:144], s[22:23], v[75:76]
	;; [unrolled: 1-line block ×5, first 2 shown]
	v_fma_f64 v[125:126], v[71:72], s[2:3], -v[125:126]
	v_fma_f64 v[189:190], v[71:72], s[0:1], v[127:128]
	v_fma_f64 v[127:128], v[71:72], s[0:1], -v[127:128]
	v_fma_f64 v[191:192], v[71:72], s[14:15], v[52:53]
	;; [unrolled: 2-line block ×3, first 2 shown]
	v_fma_f64 v[129:130], v[73:74], s[26:27], v[129:130]
	v_add_f64_e32 v[22:23], v[25:26], v[22:23]
	v_add_f64_e32 v[20:21], v[29:30], v[20:21]
	;; [unrolled: 1-line block ×4, first 2 shown]
	v_fma_f64 v[25:26], v[73:74], s[6:7], v[135:136]
	v_add_f64_e32 v[99:100], v[175:176], v[99:100]
	v_add_f64_e32 v[95:96], v[113:114], v[95:96]
	;; [unrolled: 1-line block ×5, first 2 shown]
	v_mul_f64_e32 v[89:90], s[2:3], v[89:90]
	v_fma_f64 v[29:30], v[73:74], s[36:37], v[69:70]
	v_add_f64_e32 v[77:78], v[77:78], v[105:106]
	v_add_f64_e32 v[105:106], v[179:180], v[171:172]
	;; [unrolled: 1-line block ×3, first 2 shown]
	v_fma_f64 v[69:70], v[73:74], s[28:29], v[69:70]
	v_add_f64_e32 v[0:1], v[41:42], v[0:1]
	v_add_f64_e32 v[2:3], v[45:46], v[2:3]
	v_fma_f64 v[135:136], v[73:74], s[18:19], v[135:136]
	v_add_f64_e32 v[41:42], v[119:120], v[107:108]
	v_fma_f64 v[133:134], v[73:74], s[20:21], v[133:134]
	v_add_f64_e32 v[45:46], v[117:118], v[103:104]
	v_add_f64_e32 v[97:98], v[115:116], v[97:98]
	;; [unrolled: 1-line block ×3, first 2 shown]
	v_mul_f64_e32 v[155:156], s[6:7], v[87:88]
	v_mul_f64_e32 v[93:94], s[0:1], v[85:86]
	v_fma_f64 v[50:51], v[79:80], s[16:17], v[139:140]
	v_fma_f64 v[103:104], v[91:92], s[26:27], v[147:148]
	v_mul_f64_e32 v[157:158], s[28:29], v[87:88]
	v_mul_f64_e32 v[113:114], s[14:15], v[85:86]
	v_fma_f64 v[175:176], v[79:80], s[0:1], v[141:142]
	v_fma_f64 v[115:116], v[91:92], s[6:7], v[149:150]
	v_add_f64_e32 v[31:32], v[31:32], v[54:55]
	v_add_f64_e32 v[54:55], v[58:59], v[56:57]
	;; [unrolled: 1-line block ×3, first 2 shown]
	v_mul_f64_e32 v[153:154], s[22:23], v[87:88]
	v_mul_f64_e32 v[73:74], s[20:21], v[87:88]
	;; [unrolled: 1-line block ×3, first 2 shown]
	v_add_f64_e32 v[18:19], v[22:23], v[18:19]
	v_add_f64_e32 v[16:17], v[20:21], v[16:17]
	;; [unrolled: 1-line block ×6, first 2 shown]
	v_mul_f64_e32 v[159:160], s[12:13], v[85:86]
	v_mul_f64_e32 v[109:110], s[2:3], v[85:86]
	;; [unrolled: 1-line block ×3, first 2 shown]
	v_fma_f64 v[181:182], v[79:80], s[14:15], v[137:138]
	v_fma_f64 v[137:138], v[79:80], s[14:15], -v[137:138]
	v_fma_f64 v[139:140], v[79:80], s[16:17], -v[139:140]
	;; [unrolled: 1-line block ×3, first 2 shown]
	v_fma_f64 v[183:184], v[79:80], s[12:13], v[143:144]
	v_fma_f64 v[143:144], v[79:80], s[12:13], -v[143:144]
	v_fma_f64 v[20:21], v[79:80], s[2:3], v[75:76]
	v_fma_f64 v[22:23], v[79:80], s[2:3], -v[75:76]
	v_fma_f64 v[79:80], v[91:92], s[28:29], v[145:146]
	v_fma_f64 v[119:120], v[91:92], s[34:35], v[151:152]
	v_add_f64_e32 v[56:57], v[129:130], v[95:96]
	v_add_f64_e32 v[99:100], v[189:190], v[111:112]
	;; [unrolled: 1-line block ×3, first 2 shown]
	v_fma_f64 v[107:108], v[91:92], s[30:31], v[147:148]
	v_fma_f64 v[147:148], v[91:92], s[24:25], v[89:90]
	v_add_f64_e32 v[95:96], v[125:126], v[101:102]
	v_add_f64_e32 v[101:102], v[191:192], v[105:106]
	v_add_f64_e32 v[29:30], v[29:30], v[169:170]
	v_fma_f64 v[89:90], v[91:92], s[20:21], v[89:90]
	v_add_f64_e32 v[0:1], v[52:53], v[0:1]
	v_add_f64_e32 v[2:3], v[69:70], v[2:3]
	v_fma_f64 v[75:76], v[91:92], s[36:37], v[145:146]
	v_fma_f64 v[145:146], v[91:92], s[22:23], v[151:152]
	v_add_f64_e32 v[77:78], v[127:128], v[77:78]
	v_add_f64_e32 v[41:42], v[135:136], v[41:42]
	v_fma_f64 v[117:118], v[91:92], s[18:19], v[149:150]
	v_add_f64_e32 v[45:46], v[133:134], v[45:46]
	v_add_f64_e32 v[37:38], v[37:38], v[97:98]
	;; [unrolled: 1-line block ×5, first 2 shown]
	v_fma_f64 v[151:152], v[81:82], s[0:1], v[155:156]
	v_fma_f64 v[97:98], v[83:84], s[18:19], v[93:94]
	v_add_f64_e32 v[27:28], v[50:51], v[27:28]
	v_add_f64_e32 v[33:34], v[103:104], v[33:34]
	v_fma_f64 v[18:19], v[81:82], s[14:15], v[157:158]
	v_fma_f64 v[105:106], v[83:84], s[36:37], v[113:114]
	v_add_f64_e32 v[43:44], v[175:176], v[43:44]
	v_add_f64_e32 v[50:51], v[115:116], v[58:59]
	v_fma_f64 v[91:92], v[81:82], s[12:13], v[153:154]
	v_fma_f64 v[149:150], v[81:82], s[12:13], -v[153:154]
	v_fma_f64 v[153:154], v[81:82], s[0:1], -v[155:156]
	;; [unrolled: 1-line block ×3, first 2 shown]
	v_fma_f64 v[69:70], v[81:82], s[2:3], v[73:74]
	v_fma_f64 v[71:72], v[81:82], s[2:3], -v[73:74]
	v_fma_f64 v[73:74], v[81:82], s[16:17], v[87:88]
	v_fma_f64 v[81:82], v[81:82], s[16:17], -v[87:88]
	v_fma_f64 v[87:88], v[83:84], s[34:35], v[159:160]
	v_fma_f64 v[16:17], v[83:84], s[22:23], v[159:160]
	;; [unrolled: 1-line block ×8, first 2 shown]
	v_add_f64_e32 v[31:32], v[181:182], v[31:32]
	v_add_f64_e32 v[56:57], v[79:80], v[56:57]
	;; [unrolled: 1-line block ×40, first 2 shown]
	v_lshrrev_b32_e32 v4, 4, v60
	s_delay_alu instid0(VALU_DEP_1) | instskip(NEXT) | instid1(VALU_DEP_1)
	v_mul_u32_u24_e32 v4, 0xb0, v4
	v_or_b32_e32 v4, v4, v24
	s_delay_alu instid0(VALU_DEP_1)
	v_lshl_add_u32 v4, v4, 4, 0
	ds_store_b128 v4, v[12:15] offset:512
	ds_store_b128 v4, v[20:23] offset:768
	;; [unrolled: 1-line block ×10, first 2 shown]
	ds_store_b128 v4, v[54:57]
	global_wb scope:SCOPE_SE
	s_wait_dscnt 0x0
	s_barrier_signal -1
	s_barrier_wait -1
	global_inv scope:SCOPE_SE
	s_and_saveexec_b32 s33, vcc_lo
	s_cbranch_execz .LBB0_27
; %bb.26:
	v_mul_u32_u24_e32 v0, 10, v60
	v_add_nc_u32_e32 v127, 0x2c0, v66
	v_add_nc_u32_e32 v130, 0x4d0, v66
	;; [unrolled: 1-line block ×4, first 2 shown]
	v_lshlrev_b32_e32 v20, 4, v0
	v_add_nc_u32_e32 v131, 0x580, v66
	v_mad_co_u64_u32 v[99:100], null, s8, v130, 0
	v_add_nc_u32_e32 v129, 0x420, v66
	s_clause 0x9
	global_load_b128 v[12:15], v20, s[4:5] offset:2784
	global_load_b128 v[8:11], v20, s[4:5] offset:2800
	;; [unrolled: 1-line block ×10, first 2 shown]
	ds_load_b128 v[44:47], v61
	ds_load_b128 v[40:43], v40 offset:14080
	ds_load_b128 v[69:72], v67 offset:22528
	;; [unrolled: 1-line block ×6, first 2 shown]
	ds_load_b128 v[81:84], v48
	ds_load_b128 v[60:63], v49
	;; [unrolled: 1-line block ×4, first 2 shown]
	v_mad_co_u64_u32 v[103:104], null, s8, v132, 0
	v_add_nc_u32_e32 v133, 0x6e0, v66
	v_mad_co_u64_u32 v[101:102], null, s8, v131, 0
	v_add_co_u32 v64, vcc_lo, s10, v64
	s_wait_alu 0xfffd
	v_add_co_ci_u32_e32 v65, vcc_lo, s11, v65, vcc_lo
	s_wait_loadcnt_dscnt 0x90a
	v_mul_f64_e32 v[89:90], v[44:45], v[14:15]
	v_mul_f64_e32 v[91:92], v[14:15], v[46:47]
	s_wait_loadcnt_dscnt 0x801
	v_mul_f64_e32 v[97:98], v[85:86], v[10:11]
	v_mul_f64_e32 v[10:11], v[10:11], v[87:88]
	s_wait_loadcnt 0x7
	v_mul_f64_e32 v[105:106], v[6:7], v[83:84]
	s_wait_loadcnt 0x4
	v_mul_f64_e32 v[111:112], v[34:35], v[79:80]
	v_mul_f64_e32 v[34:35], v[77:78], v[34:35]
	;; [unrolled: 1-line block ×7, first 2 shown]
	v_mad_co_u64_u32 v[14:15], null, s8, v66, 0
	s_wait_loadcnt 0x2
	v_mul_f64_e32 v[118:119], v[18:19], v[58:59]
	s_wait_loadcnt 0x1
	v_mul_f64_e32 v[120:121], v[26:27], v[42:43]
	v_mul_f64_e32 v[18:19], v[56:57], v[18:19]
	;; [unrolled: 1-line block ×3, first 2 shown]
	s_wait_loadcnt 0x0
	v_mul_f64_e32 v[122:123], v[22:23], v[54:55]
	v_mul_f64_e32 v[22:23], v[52:53], v[22:23]
	v_mad_co_u64_u32 v[115:116], null, s9, v66, v[15:16]
	v_add_nc_u32_e32 v124, 0x160, v66
	s_delay_alu instid0(VALU_DEP_1)
	v_mad_co_u64_u32 v[93:94], null, s8, v124, 0
	v_add_nc_u32_e32 v117, 0xb0, v66
	v_fma_f64 v[46:47], v[12:13], v[46:47], -v[89:90]
	v_fma_f64 v[12:13], v[12:13], v[44:45], v[91:92]
	v_fma_f64 v[87:88], v[8:9], v[87:88], -v[97:98]
	v_fma_f64 v[8:9], v[8:9], v[85:86], v[10:11]
	v_mad_co_u64_u32 v[44:45], null, s8, v127, 0
	v_fma_f64 v[77:78], v[32:33], v[77:78], v[111:112]
	v_fma_f64 v[32:33], v[32:33], v[79:80], -v[34:35]
	v_fma_f64 v[81:82], v[4:5], v[81:82], v[105:106]
	v_fma_f64 v[69:70], v[0:1], v[69:70], v[107:108]
	v_fma_f64 v[4:5], v[4:5], v[83:84], -v[6:7]
	v_fma_f64 v[0:1], v[0:1], v[71:72], -v[2:3]
	;; [unrolled: 1-line block ×3, first 2 shown]
	v_mad_co_u64_u32 v[89:90], null, s8, v128, 0
	v_fma_f64 v[73:74], v[36:37], v[73:74], v[109:110]
	v_fma_f64 v[56:57], v[16:17], v[56:57], v[118:119]
	;; [unrolled: 1-line block ×3, first 2 shown]
	v_fma_f64 v[20:21], v[20:21], v[54:55], -v[22:23]
	s_wait_dscnt 0x0
	v_add_f64_e32 v[97:98], v[50:51], v[46:47]
	v_add_f64_e32 v[10:11], v[12:13], v[48:49]
	v_mad_co_u64_u32 v[34:35], null, s9, v127, v[45:46]
	v_add_nc_u32_e32 v126, 0x210, v66
	v_mov_b32_e32 v66, v94
	v_mad_co_u64_u32 v[67:68], null, s8, v117, 0
	v_mov_b32_e32 v94, v100
	v_mad_co_u64_u32 v[91:92], null, s8, v129, 0
	v_mov_b32_e32 v45, v34
	v_mad_co_u64_u32 v[95:96], null, s8, v126, 0
	v_dual_mov_b32 v15, v68 :: v_dual_mov_b32 v100, v104
	v_mad_co_u64_u32 v[113:114], null, s8, v133, 0
	v_mad_co_u64_u32 v[35:36], null, s9, v128, v[90:91]
	s_delay_alu instid0(VALU_DEP_3)
	v_mad_co_u64_u32 v[85:86], null, s9, v117, v[15:16]
	v_mul_f64_e32 v[116:117], v[30:31], v[62:63]
	v_mul_f64_e32 v[30:31], v[60:61], v[30:31]
	v_mov_b32_e32 v68, v96
	v_mov_b32_e32 v96, v102
	v_mad_co_u64_u32 v[36:37], null, s9, v129, v[92:93]
	v_mad_co_u64_u32 v[37:38], null, s9, v130, v[94:95]
	v_fma_f64 v[16:17], v[16:17], v[58:59], -v[18:19]
	v_fma_f64 v[18:19], v[24:25], v[42:43], -v[26:27]
	v_mov_b32_e32 v90, v35
	v_add_f64_e64 v[26:27], v[4:5], -v[0:1]
	v_add_f64_e64 v[34:35], v[46:47], -v[32:33]
	v_mov_b32_e32 v102, v114
	v_mad_co_u64_u32 v[6:7], null, s9, v126, v[68:69]
	v_add_f64_e32 v[75:76], v[87:88], v[97:98]
	v_add_f64_e32 v[10:11], v[8:9], v[10:11]
	v_mad_co_u64_u32 v[38:39], null, s9, v131, v[96:97]
	v_fma_f64 v[39:40], v[24:25], v[40:41], v[120:121]
	v_add_f64_e64 v[24:25], v[12:13], -v[77:78]
	v_mad_co_u64_u32 v[79:80], null, s9, v133, v[102:103]
	v_dual_mov_b32 v96, v6 :: v_dual_mov_b32 v15, v115
	v_mad_co_u64_u32 v[124:125], null, s9, v124, v[66:67]
	v_add_f64_e64 v[6:7], v[81:82], -v[69:70]
	v_add_f64_e64 v[22:23], v[8:9], -v[73:74]
	v_mov_b32_e32 v114, v79
	v_lshlrev_b64_e32 v[54:55], 4, v[95:96]
	v_lshlrev_b64_e32 v[58:59], 4, v[89:90]
	v_add_f64_e32 v[46:47], v[46:47], v[32:33]
	v_add_f64_e32 v[8:9], v[8:9], v[73:74]
	v_lshlrev_b64_e32 v[83:84], 4, v[113:114]
	v_add_f64_e32 v[12:13], v[12:13], v[77:78]
	v_mad_co_u64_u32 v[71:72], null, s9, v132, v[100:101]
	v_fma_f64 v[60:61], v[28:29], v[60:61], v[116:117]
	v_fma_f64 v[28:29], v[28:29], v[62:63], -v[30:31]
	v_add_f64_e64 v[30:31], v[87:88], -v[2:3]
	v_mov_b32_e32 v68, v85
	v_mov_b32_e32 v94, v124
	;; [unrolled: 1-line block ×4, first 2 shown]
	v_add_f64_e32 v[85:86], v[87:88], v[2:3]
	v_lshlrev_b64_e32 v[36:37], 4, v[67:68]
	v_lshlrev_b64_e32 v[41:42], 4, v[93:94]
	v_mul_f64_e32 v[109:110], s[28:29], v[26:27]
	v_mul_f64_e32 v[113:114], s[22:23], v[34:35]
	;; [unrolled: 1-line block ×5, first 2 shown]
	v_add_f64_e32 v[75:76], v[4:5], v[75:76]
	v_add_f64_e32 v[10:11], v[81:82], v[10:11]
	;; [unrolled: 1-line block ×3, first 2 shown]
	v_mul_f64_e32 v[34:35], s[18:19], v[34:35]
	v_lshlrev_b64_e32 v[66:67], 4, v[99:100]
	v_mul_f64_e32 v[117:118], s[28:29], v[24:25]
	v_mul_f64_e32 v[107:108], s[22:23], v[24:25]
	;; [unrolled: 1-line block ×5, first 2 shown]
	v_add_f64_e64 v[93:94], v[18:19], -v[20:21]
	v_add_f64_e32 v[99:100], v[18:19], v[20:21]
	v_mov_b32_e32 v102, v38
	v_mul_f64_e32 v[121:122], s[30:31], v[22:23]
	v_mul_f64_e32 v[105:106], s[6:7], v[22:23]
	;; [unrolled: 1-line block ×3, first 2 shown]
	v_mov_b32_e32 v104, v71
	v_add_f64_e32 v[4:5], v[4:5], v[0:1]
	v_mul_f64_e32 v[115:116], s[18:19], v[6:7]
	v_mul_f64_e32 v[123:124], s[18:19], v[26:27]
	v_lshlrev_b64_e32 v[62:63], 4, v[91:92]
	v_lshlrev_b64_e32 v[71:72], 4, v[101:102]
	;; [unrolled: 1-line block ×3, first 2 shown]
	v_add_f64_e64 v[87:88], v[60:61], -v[56:57]
	v_add_f64_e64 v[89:90], v[28:29], -v[16:17]
	v_add_f64_e32 v[95:96], v[28:29], v[16:17]
	v_mul_f64_e32 v[111:112], s[6:7], v[30:31]
	v_mul_f64_e32 v[129:130], s[30:31], v[30:31]
	v_add_f64_e32 v[97:98], v[60:61], v[56:57]
	v_mul_f64_e32 v[145:146], s[28:29], v[30:31]
	v_add_f64_e64 v[91:92], v[39:40], -v[52:53]
	v_add_f64_e32 v[101:102], v[39:40], v[52:53]
	v_mul_f64_e32 v[103:104], s[28:29], v[6:7]
	v_mul_f64_e32 v[131:132], s[20:21], v[6:7]
	v_fma_f64 v[187:188], v[12:13], s[12:13], -v[113:114]
	v_fma_f64 v[189:190], v[12:13], s[14:15], -v[119:120]
	v_fma_f64 v[119:120], v[12:13], s[14:15], v[119:120]
	v_fma_f64 v[193:194], v[12:13], s[16:17], -v[127:128]
	v_add_f64_e32 v[28:29], v[28:29], v[75:76]
	v_add_f64_e32 v[10:11], v[60:61], v[10:11]
	v_fma_f64 v[183:184], v[81:82], s[14:15], -v[109:110]
	v_mul_f64_e32 v[75:76], s[34:35], v[30:31]
	v_mul_f64_e32 v[60:61], s[28:29], v[22:23]
	;; [unrolled: 1-line block ×4, first 2 shown]
	v_fma_f64 v[127:128], v[12:13], s[16:17], v[127:128]
	v_fma_f64 v[197:198], v[12:13], s[2:3], -v[135:136]
	v_fma_f64 v[135:136], v[12:13], s[2:3], v[135:136]
	v_fma_f64 v[199:200], v[46:47], s[0:1], v[24:25]
	v_fma_f64 v[201:202], v[12:13], s[0:1], -v[34:35]
	v_fma_f64 v[24:25], v[46:47], s[0:1], -v[24:25]
	v_fma_f64 v[181:182], v[46:47], s[12:13], v[107:108]
	v_fma_f64 v[107:108], v[46:47], s[12:13], -v[107:108]
	v_fma_f64 v[191:192], v[46:47], s[16:17], v[125:126]
	;; [unrolled: 2-line block ×3, first 2 shown]
	v_fma_f64 v[133:134], v[46:47], s[2:3], -v[133:134]
	v_mul_f64_e32 v[139:140], s[20:21], v[26:27]
	v_mul_f64_e32 v[141:142], s[34:35], v[6:7]
	;; [unrolled: 1-line block ×5, first 2 shown]
	v_fma_f64 v[207:208], v[85:86], s[12:13], v[137:138]
	v_fma_f64 v[137:138], v[85:86], s[12:13], -v[137:138]
	v_fma_f64 v[185:186], v[8:9], s[0:1], -v[111:112]
	v_fma_f64 v[203:204], v[8:9], s[16:17], -v[129:130]
	v_fma_f64 v[179:180], v[85:86], s[0:1], v[105:106]
	v_fma_f64 v[105:106], v[85:86], s[0:1], -v[105:106]
	v_fma_f64 v[129:130], v[8:9], s[16:17], v[129:130]
	v_mul_f64_e32 v[149:150], s[20:21], v[89:90]
	v_mul_f64_e32 v[153:154], s[22:23], v[89:90]
	;; [unrolled: 1-line block ×3, first 2 shown]
	v_add_f64_e32 v[187:188], v[48:49], v[187:188]
	v_add_f64_e32 v[189:190], v[48:49], v[189:190]
	;; [unrolled: 1-line block ×5, first 2 shown]
	v_fma_f64 v[28:29], v[81:82], s[14:15], v[109:110]
	v_fma_f64 v[109:110], v[8:9], s[0:1], v[111:112]
	;; [unrolled: 1-line block ×3, first 2 shown]
	v_add_f64_e32 v[10:11], v[39:40], v[10:11]
	v_fma_f64 v[113:114], v[46:47], s[14:15], v[117:118]
	v_fma_f64 v[12:13], v[12:13], s[0:1], v[34:35]
	v_fma_f64 v[117:118], v[46:47], s[14:15], -v[117:118]
	v_fma_f64 v[34:35], v[85:86], s[16:17], v[121:122]
	v_fma_f64 v[121:122], v[85:86], s[16:17], -v[121:122]
	v_fma_f64 v[213:214], v[85:86], s[14:15], -v[60:61]
	v_add_f64_e32 v[127:128], v[48:49], v[127:128]
	v_add_f64_e32 v[24:25], v[50:51], v[24:25]
	;; [unrolled: 1-line block ×10, first 2 shown]
	v_fma_f64 v[211:212], v[8:9], s[12:13], -v[75:76]
	v_fma_f64 v[75:76], v[8:9], s[12:13], v[75:76]
	v_fma_f64 v[60:61], v[85:86], s[14:15], v[60:61]
	;; [unrolled: 1-line block ×3, first 2 shown]
	v_fma_f64 v[46:47], v[81:82], s[0:1], -v[123:124]
	v_mul_f64_e32 v[151:152], s[22:23], v[87:88]
	v_mul_f64_e32 v[155:156], s[18:19], v[87:88]
	;; [unrolled: 1-line block ×7, first 2 shown]
	v_fma_f64 v[177:178], v[4:5], s[14:15], v[103:104]
	v_fma_f64 v[103:104], v[4:5], s[14:15], -v[103:104]
	v_fma_f64 v[115:116], v[4:5], s[0:1], -v[115:116]
	v_fma_f64 v[205:206], v[4:5], s[2:3], v[131:132]
	v_fma_f64 v[131:132], v[4:5], s[2:3], -v[131:132]
	v_add_f64_e32 v[18:19], v[20:21], v[18:19]
	v_fma_f64 v[20:21], v[85:86], s[2:3], -v[22:23]
	v_fma_f64 v[22:23], v[85:86], s[2:3], v[22:23]
	v_add_f64_e32 v[111:112], v[48:49], v[111:112]
	v_add_f64_e32 v[10:11], v[52:53], v[10:11]
	;; [unrolled: 1-line block ×3, first 2 shown]
	v_fma_f64 v[52:53], v[8:9], s[2:3], v[30:31]
	v_add_f64_e32 v[12:13], v[48:49], v[12:13]
	v_add_f64_e32 v[117:118], v[50:51], v[117:118]
	;; [unrolled: 1-line block ×4, first 2 shown]
	v_fma_f64 v[48:49], v[8:9], s[14:15], v[145:146]
	v_fma_f64 v[145:146], v[8:9], s[14:15], -v[145:146]
	v_fma_f64 v[8:9], v[8:9], s[2:3], -v[30:31]
	v_fma_f64 v[201:202], v[4:5], s[12:13], v[141:142]
	v_fma_f64 v[85:86], v[81:82], s[12:13], -v[143:144]
	v_fma_f64 v[141:142], v[4:5], s[12:13], -v[141:142]
	v_fma_f64 v[30:31], v[81:82], s[12:13], v[143:144]
	v_fma_f64 v[143:144], v[4:5], s[16:17], v[6:7]
	v_fma_f64 v[4:5], v[4:5], s[16:17], -v[6:7]
	v_fma_f64 v[6:7], v[81:82], s[16:17], -v[26:27]
	v_fma_f64 v[26:27], v[81:82], s[16:17], v[26:27]
	v_fma_f64 v[209:210], v[81:82], s[2:3], -v[139:140]
	v_fma_f64 v[139:140], v[81:82], s[2:3], v[139:140]
	v_fma_f64 v[123:124], v[81:82], s[0:1], v[123:124]
	v_add_f64_e32 v[105:106], v[105:106], v[107:108]
	v_add_f64_e32 v[119:120], v[129:130], v[119:120]
	v_mul_f64_e32 v[163:164], s[26:27], v[91:92]
	v_mul_f64_e32 v[165:166], s[26:27], v[93:94]
	v_add_f64_e32 v[179:180], v[179:180], v[181:182]
	v_add_f64_e32 v[185:186], v[185:186], v[187:188]
	v_fma_f64 v[187:188], v[97:98], s[2:3], -v[149:150]
	v_fma_f64 v[149:150], v[97:98], s[2:3], v[149:150]
	v_mul_f64_e32 v[167:168], s[20:21], v[91:92]
	v_mul_f64_e32 v[169:170], s[20:21], v[93:94]
	;; [unrolled: 1-line block ×5, first 2 shown]
	v_add_f64_e32 v[16:17], v[16:17], v[18:19]
	v_add_f64_e32 v[20:21], v[20:21], v[24:25]
	;; [unrolled: 1-line block ×18, first 2 shown]
	v_fma_f64 v[111:112], v[97:98], s[12:13], -v[153:154]
	v_mul_f64_e32 v[81:82], s[6:7], v[93:94]
	v_mul_f64_e32 v[91:92], s[22:23], v[91:92]
	;; [unrolled: 1-line block ×3, first 2 shown]
	v_fma_f64 v[181:182], v[95:96], s[2:3], v[147:148]
	v_fma_f64 v[147:148], v[95:96], s[2:3], -v[147:148]
	v_fma_f64 v[107:108], v[95:96], s[12:13], v[151:152]
	v_fma_f64 v[151:152], v[95:96], s[12:13], -v[151:152]
	;; [unrolled: 2-line block ×5, first 2 shown]
	v_fma_f64 v[95:96], v[97:98], s[14:15], -v[89:90]
	v_fma_f64 v[89:90], v[97:98], s[14:15], v[89:90]
	v_fma_f64 v[145:146], v[97:98], s[16:17], v[161:162]
	;; [unrolled: 1-line block ×4, first 2 shown]
	v_add_f64_e32 v[103:104], v[103:104], v[105:106]
	v_add_f64_e32 v[0:1], v[0:1], v[16:17]
	;; [unrolled: 1-line block ×14, first 2 shown]
	v_fma_f64 v[75:76], v[97:98], s[0:1], -v[157:158]
	v_fma_f64 v[135:136], v[97:98], s[16:17], -v[161:162]
	v_fma_f64 v[97:98], v[99:100], s[16:17], v[163:164]
	v_fma_f64 v[157:158], v[101:102], s[16:17], -v[165:166]
	v_fma_f64 v[159:160], v[99:100], s[16:17], -v[163:164]
	v_fma_f64 v[161:162], v[101:102], s[16:17], v[165:166]
	v_add_f64_e32 v[163:164], v[177:178], v[179:180]
	v_add_f64_e32 v[165:166], v[183:184], v[185:186]
	;; [unrolled: 1-line block ×8, first 2 shown]
	v_fma_f64 v[123:124], v[99:100], s[12:13], v[91:92]
	v_fma_f64 v[125:126], v[101:102], s[12:13], -v[93:94]
	v_fma_f64 v[91:92], v[99:100], s[12:13], -v[91:92]
	v_fma_f64 v[93:94], v[101:102], s[12:13], v[93:94]
	v_fma_f64 v[119:120], v[101:102], s[0:1], -v[81:82]
	v_fma_f64 v[121:122], v[99:100], s[0:1], -v[175:176]
	v_fma_f64 v[81:82], v[101:102], s[0:1], v[81:82]
	v_fma_f64 v[85:86], v[99:100], s[14:15], -v[171:172]
	v_fma_f64 v[115:116], v[101:102], s[14:15], v[173:174]
	;; [unrolled: 2-line block ×3, first 2 shown]
	v_add_f64_e32 v[103:104], v[147:148], v[103:104]
	v_add_f64_e32 v[87:88], v[87:88], v[4:5]
	;; [unrolled: 1-line block ×14, first 2 shown]
	v_fma_f64 v[8:9], v[99:100], s[2:3], v[167:168]
	v_fma_f64 v[48:49], v[101:102], s[2:3], -v[169:170]
	v_fma_f64 v[60:61], v[99:100], s[14:15], v[171:172]
	v_fma_f64 v[68:69], v[101:102], s[14:15], -v[173:174]
	v_fma_f64 v[117:118], v[99:100], s[0:1], v[175:176]
	v_add_f64_e32 v[99:100], v[181:182], v[163:164]
	v_add_f64_e32 v[101:102], v[187:188], v[165:166]
	;; [unrolled: 1-line block ×8, first 2 shown]
	v_lshlrev_b64_e32 v[14:15], 4, v[14:15]
	v_lshlrev_b64_e32 v[44:45], 4, v[44:45]
	s_delay_alu instid0(VALU_DEP_2) | instskip(SKIP_1) | instid1(VALU_DEP_3)
	v_add_co_u32 v133, vcc_lo, v64, v14
	s_wait_alu 0xfffd
	v_add_co_ci_u32_e32 v134, vcc_lo, v65, v15, vcc_lo
	v_add_co_u32 v135, vcc_lo, v64, v36
	v_add_f64_e32 v[26:27], v[91:92], v[87:88]
	v_add_f64_e32 v[12:13], v[56:57], v[105:106]
	;; [unrolled: 1-line block ×5, first 2 shown]
	s_wait_alu 0xfffd
	v_add_co_ci_u32_e32 v136, vcc_lo, v65, v37, vcc_lo
	v_add_f64_e32 v[30:31], v[32:33], v[111:112]
	v_add_f64_e32 v[24:25], v[93:94], v[89:90]
	;; [unrolled: 1-line block ×9, first 2 shown]
	v_add_co_u32 v137, vcc_lo, v64, v41
	v_add_f64_e32 v[2:3], v[97:98], v[99:100]
	v_add_f64_e32 v[0:1], v[157:158], v[101:102]
	;; [unrolled: 1-line block ×6, first 2 shown]
	s_wait_alu 0xfffd
	v_add_co_ci_u32_e32 v138, vcc_lo, v65, v42, vcc_lo
	v_add_f64_e32 v[42:43], v[123:124], v[131:132]
	v_add_f64_e32 v[40:41], v[125:126], v[95:96]
	v_add_co_u32 v54, vcc_lo, v64, v54
	s_wait_alu 0xfffd
	v_add_co_ci_u32_e32 v55, vcc_lo, v65, v55, vcc_lo
	v_add_co_u32 v44, vcc_lo, v64, v44
	s_wait_alu 0xfffd
	v_add_co_ci_u32_e32 v45, vcc_lo, v65, v45, vcc_lo
	;; [unrolled: 3-line block ×8, first 2 shown]
	s_clause 0xa
	global_store_b128 v[133:134], v[28:31], off
	global_store_b128 v[135:136], v[24:27], off
	;; [unrolled: 1-line block ×11, first 2 shown]
.LBB0_27:
	s_nop 0
	s_sendmsg sendmsg(MSG_DEALLOC_VGPRS)
	s_endpgm
	.section	.rodata,"a",@progbits
	.p2align	6, 0x0
	.amdhsa_kernel fft_rtc_back_len1936_factors_2_2_4_11_11_wgs_176_tpt_176_dp_ip_CI_sbrr_dirReg
		.amdhsa_group_segment_fixed_size 0
		.amdhsa_private_segment_fixed_size 0
		.amdhsa_kernarg_size 88
		.amdhsa_user_sgpr_count 2
		.amdhsa_user_sgpr_dispatch_ptr 0
		.amdhsa_user_sgpr_queue_ptr 0
		.amdhsa_user_sgpr_kernarg_segment_ptr 1
		.amdhsa_user_sgpr_dispatch_id 0
		.amdhsa_user_sgpr_private_segment_size 0
		.amdhsa_wavefront_size32 1
		.amdhsa_uses_dynamic_stack 0
		.amdhsa_enable_private_segment 0
		.amdhsa_system_sgpr_workgroup_id_x 1
		.amdhsa_system_sgpr_workgroup_id_y 0
		.amdhsa_system_sgpr_workgroup_id_z 0
		.amdhsa_system_sgpr_workgroup_info 0
		.amdhsa_system_vgpr_workitem_id 0
		.amdhsa_next_free_vgpr 215
		.amdhsa_next_free_sgpr 38
		.amdhsa_reserve_vcc 1
		.amdhsa_float_round_mode_32 0
		.amdhsa_float_round_mode_16_64 0
		.amdhsa_float_denorm_mode_32 3
		.amdhsa_float_denorm_mode_16_64 3
		.amdhsa_fp16_overflow 0
		.amdhsa_workgroup_processor_mode 1
		.amdhsa_memory_ordered 1
		.amdhsa_forward_progress 0
		.amdhsa_round_robin_scheduling 0
		.amdhsa_exception_fp_ieee_invalid_op 0
		.amdhsa_exception_fp_denorm_src 0
		.amdhsa_exception_fp_ieee_div_zero 0
		.amdhsa_exception_fp_ieee_overflow 0
		.amdhsa_exception_fp_ieee_underflow 0
		.amdhsa_exception_fp_ieee_inexact 0
		.amdhsa_exception_int_div_zero 0
	.end_amdhsa_kernel
	.text
.Lfunc_end0:
	.size	fft_rtc_back_len1936_factors_2_2_4_11_11_wgs_176_tpt_176_dp_ip_CI_sbrr_dirReg, .Lfunc_end0-fft_rtc_back_len1936_factors_2_2_4_11_11_wgs_176_tpt_176_dp_ip_CI_sbrr_dirReg
                                        ; -- End function
	.section	.AMDGPU.csdata,"",@progbits
; Kernel info:
; codeLenInByte = 9984
; NumSgprs: 40
; NumVgprs: 215
; ScratchSize: 0
; MemoryBound: 1
; FloatMode: 240
; IeeeMode: 1
; LDSByteSize: 0 bytes/workgroup (compile time only)
; SGPRBlocks: 4
; VGPRBlocks: 26
; NumSGPRsForWavesPerEU: 40
; NumVGPRsForWavesPerEU: 215
; Occupancy: 7
; WaveLimiterHint : 1
; COMPUTE_PGM_RSRC2:SCRATCH_EN: 0
; COMPUTE_PGM_RSRC2:USER_SGPR: 2
; COMPUTE_PGM_RSRC2:TRAP_HANDLER: 0
; COMPUTE_PGM_RSRC2:TGID_X_EN: 1
; COMPUTE_PGM_RSRC2:TGID_Y_EN: 0
; COMPUTE_PGM_RSRC2:TGID_Z_EN: 0
; COMPUTE_PGM_RSRC2:TIDIG_COMP_CNT: 0
	.text
	.p2alignl 7, 3214868480
	.fill 96, 4, 3214868480
	.type	__hip_cuid_792316c56a391fae,@object ; @__hip_cuid_792316c56a391fae
	.section	.bss,"aw",@nobits
	.globl	__hip_cuid_792316c56a391fae
__hip_cuid_792316c56a391fae:
	.byte	0                               ; 0x0
	.size	__hip_cuid_792316c56a391fae, 1

	.ident	"AMD clang version 19.0.0git (https://github.com/RadeonOpenCompute/llvm-project roc-6.4.0 25133 c7fe45cf4b819c5991fe208aaa96edf142730f1d)"
	.section	".note.GNU-stack","",@progbits
	.addrsig
	.addrsig_sym __hip_cuid_792316c56a391fae
	.amdgpu_metadata
---
amdhsa.kernels:
  - .args:
      - .actual_access:  read_only
        .address_space:  global
        .offset:         0
        .size:           8
        .value_kind:     global_buffer
      - .offset:         8
        .size:           8
        .value_kind:     by_value
      - .actual_access:  read_only
        .address_space:  global
        .offset:         16
        .size:           8
        .value_kind:     global_buffer
      - .actual_access:  read_only
        .address_space:  global
        .offset:         24
        .size:           8
        .value_kind:     global_buffer
      - .offset:         32
        .size:           8
        .value_kind:     by_value
      - .actual_access:  read_only
        .address_space:  global
        .offset:         40
        .size:           8
        .value_kind:     global_buffer
      - .actual_access:  read_only
        .address_space:  global
        .offset:         48
        .size:           8
        .value_kind:     global_buffer
      - .offset:         56
        .size:           4
        .value_kind:     by_value
      - .actual_access:  read_only
        .address_space:  global
        .offset:         64
        .size:           8
        .value_kind:     global_buffer
      - .actual_access:  read_only
        .address_space:  global
        .offset:         72
        .size:           8
        .value_kind:     global_buffer
      - .address_space:  global
        .offset:         80
        .size:           8
        .value_kind:     global_buffer
    .group_segment_fixed_size: 0
    .kernarg_segment_align: 8
    .kernarg_segment_size: 88
    .language:       OpenCL C
    .language_version:
      - 2
      - 0
    .max_flat_workgroup_size: 176
    .name:           fft_rtc_back_len1936_factors_2_2_4_11_11_wgs_176_tpt_176_dp_ip_CI_sbrr_dirReg
    .private_segment_fixed_size: 0
    .sgpr_count:     40
    .sgpr_spill_count: 0
    .symbol:         fft_rtc_back_len1936_factors_2_2_4_11_11_wgs_176_tpt_176_dp_ip_CI_sbrr_dirReg.kd
    .uniform_work_group_size: 1
    .uses_dynamic_stack: false
    .vgpr_count:     215
    .vgpr_spill_count: 0
    .wavefront_size: 32
    .workgroup_processor_mode: 1
amdhsa.target:   amdgcn-amd-amdhsa--gfx1201
amdhsa.version:
  - 1
  - 2
...

	.end_amdgpu_metadata
